;; amdgpu-corpus repo=ROCm/rocFFT kind=compiled arch=gfx906 opt=O3
	.text
	.amdgcn_target "amdgcn-amd-amdhsa--gfx906"
	.amdhsa_code_object_version 6
	.protected	fft_rtc_fwd_len49_factors_7_7_wgs_196_tpt_7_sp_op_CI_CI_sbrc_xy_z_unaligned_dirReg ; -- Begin function fft_rtc_fwd_len49_factors_7_7_wgs_196_tpt_7_sp_op_CI_CI_sbrc_xy_z_unaligned_dirReg
	.globl	fft_rtc_fwd_len49_factors_7_7_wgs_196_tpt_7_sp_op_CI_CI_sbrc_xy_z_unaligned_dirReg
	.p2align	8
	.type	fft_rtc_fwd_len49_factors_7_7_wgs_196_tpt_7_sp_op_CI_CI_sbrc_xy_z_unaligned_dirReg,@function
fft_rtc_fwd_len49_factors_7_7_wgs_196_tpt_7_sp_op_CI_CI_sbrc_xy_z_unaligned_dirReg: ; @fft_rtc_fwd_len49_factors_7_7_wgs_196_tpt_7_sp_op_CI_CI_sbrc_xy_z_unaligned_dirReg
; %bb.0:
	s_load_dwordx4 s[0:3], s[4:5], 0x10
	s_load_dwordx2 s[16:17], s[4:5], 0x20
	s_mov_b32 s7, 0
	s_mov_b32 s21, s7
	s_waitcnt lgkmcnt(0)
	s_load_dwordx4 s[8:11], s[0:1], 0x8
	s_load_dwordx4 s[12:15], s[2:3], 0x0
	s_load_dwordx2 s[18:19], s[2:3], 0x10
	s_waitcnt lgkmcnt(0)
	s_add_i32 s0, s10, -1
	s_lshr_b32 s0, s0, 2
	s_mul_hi_u32 s0, s0, 0x24924925
	s_add_i32 s0, s0, 1
	s_mul_i32 s0, s0, s8
	v_cvt_f32_u32_e32 v1, s0
	s_sub_i32 s1, 0, s0
	v_rcp_iflag_f32_e32 v1, v1
	v_mul_f32_e32 v1, 0x4f7ffffe, v1
	v_cvt_u32_f32_e32 v3, v1
	v_mov_b32_e32 v1, s8
	v_mov_b32_e32 v2, s9
	v_readfirstlane_b32 s11, v3
	s_mul_i32 s1, s1, s11
	s_mul_hi_u32 s1, s11, s1
	s_add_i32 s11, s11, s1
	s_mul_hi_u32 s1, s6, s11
	s_mul_i32 s11, s1, s0
	s_sub_i32 s11, s6, s11
	s_add_i32 s15, s1, 1
	s_sub_i32 s19, s11, s0
	s_cmp_ge_u32 s11, s0
	s_cselect_b32 s1, s15, s1
	s_cselect_b32 s11, s19, s11
	s_add_i32 s15, s1, 1
	s_cmp_ge_u32 s11, s0
	s_cselect_b32 s19, s15, s1
	s_mul_i32 s0, s19, s0
	s_sub_i32 s20, s6, s0
	v_cmp_lt_u64_e32 vcc, s[20:21], v[1:2]
	v_cvt_f32_u32_e32 v1, s8
	s_mov_b64 s[0:1], 0
	s_cbranch_vccnz .LBB0_2
; %bb.1:
	v_rcp_iflag_f32_e32 v2, v1
	s_sub_i32 s0, 0, s8
	v_mul_f32_e32 v2, 0x4f7ffffe, v2
	v_cvt_u32_f32_e32 v2, v2
	v_readfirstlane_b32 s1, v2
	s_mul_i32 s0, s0, s1
	s_mul_hi_u32 s0, s1, s0
	s_add_i32 s1, s1, s0
	s_mul_hi_u32 s0, s20, s1
	s_mul_i32 s11, s0, s8
	s_sub_i32 s11, s20, s11
	s_add_i32 s1, s0, 1
	s_sub_i32 s15, s11, s8
	s_cmp_ge_u32 s11, s8
	s_cselect_b32 s0, s1, s0
	s_cselect_b32 s11, s15, s11
	s_add_i32 s1, s0, 1
	s_cmp_ge_u32 s11, s8
	s_cselect_b32 s0, s1, s0
.LBB0_2:
	s_load_dwordx2 s[20:21], s[4:5], 0x58
	v_mov_b32_e32 v2, s8
	v_mov_b32_e32 v3, s9
	v_cmp_lt_u64_e32 vcc, s[6:7], v[2:3]
	s_cbranch_vccnz .LBB0_4
; %bb.3:
	v_rcp_iflag_f32_e32 v1, v1
	s_sub_i32 s1, 0, s8
	v_mul_f32_e32 v1, 0x4f7ffffe, v1
	v_cvt_u32_f32_e32 v1, v1
	v_readfirstlane_b32 s7, v1
	s_mul_i32 s1, s1, s7
	s_mul_hi_u32 s1, s7, s1
	s_add_i32 s7, s7, s1
	s_mul_hi_u32 s1, s6, s7
	s_mul_i32 s1, s1, s8
	s_sub_i32 s1, s6, s1
	s_sub_i32 s6, s1, s8
	s_cmp_ge_u32 s1, s8
	s_cselect_b32 s1, s6, s1
	s_sub_i32 s6, s1, s8
	s_cmp_ge_u32 s1, s8
	s_cselect_b32 s6, s6, s1
.LBB0_4:
	s_load_dwordx2 s[8:9], s[4:5], 0x8
	s_mul_i32 s28, s0, 28
	s_mul_i32 s1, s6, s14
	s_mul_i32 s0, s28, s18
	s_add_i32 s7, s1, s0
	s_waitcnt lgkmcnt(0)
	s_lshl_b64 s[8:9], s[8:9], 3
	s_add_u32 s22, s2, s8
	s_addc_u32 s23, s3, s9
	s_load_dwordx2 s[24:25], s[22:23], 0x0
	s_load_dwordx4 s[0:3], s[16:17], 0x0
	s_load_dwordx2 s[14:15], s[16:17], 0x10
	v_mul_u32_u24_e32 v1, 0x53a, v0
	v_lshrrev_b32_e32 v3, 16, v1
	s_waitcnt lgkmcnt(0)
	s_mul_i32 s3, s25, s19
	s_mul_hi_u32 s11, s24, s19
	s_mul_i32 s15, s24, s19
	s_add_i32 s11, s11, s3
	s_add_u32 s22, s15, s7
	s_addc_u32 s23, s11, 0
	s_add_u32 s8, s16, s8
	s_addc_u32 s9, s17, s9
	s_load_dwordx2 s[8:9], s[8:9], 0x0
	s_add_i32 s3, s28, 28
	s_cmp_le_u32 s3, s10
	s_cselect_b64 s[16:17], -1, 0
	v_mul_lo_u16_e32 v1, 49, v3
	v_sub_u16_e32 v4, v0, v1
	s_mov_b64 s[24:25], -1
	s_and_b64 vcc, exec, s[16:17]
	s_cbranch_vccnz .LBB0_9
; %bb.5:
	v_add_u32_e32 v5, s28, v3
	v_cmp_gt_u32_e32 vcc, s10, v5
	s_and_saveexec_b64 s[24:25], vcc
	s_cbranch_execz .LBB0_8
; %bb.6:
	v_mad_u64_u32 v[1:2], s[26:27], s12, v4, 0
	s_lshl_b64 s[26:27], s[22:23], 3
	s_add_u32 s3, s20, s26
	v_mad_u64_u32 v[6:7], s[30:31], s13, v4, v[2:3]
	s_addc_u32 s7, s21, s27
	v_mov_b32_e32 v7, s7
	v_mov_b32_e32 v2, v6
	v_lshlrev_b64 v[1:2], 3, v[1:2]
	s_lshl_b32 s7, s18, 2
	v_add_co_u32_e32 v6, vcc, s3, v1
	v_addc_co_u32_e32 v7, vcc, v7, v2, vcc
	v_mul_u32_u24_e32 v1, 0xe0, v4
	v_lshlrev_b32_e32 v2, 3, v3
	v_add3_u32 v8, v1, v2, 0
	v_mul_lo_u32 v1, v3, s18
	s_mov_b32 s3, 0
	s_mov_b64 s[26:27], 0
	v_mov_b32_e32 v2, 0
.LBB0_7:                                ; =>This Inner Loop Header: Depth=1
	v_lshlrev_b64 v[9:10], 3, v[1:2]
	s_add_i32 s3, s3, 4
	v_add_co_u32_e32 v9, vcc, v6, v9
	v_addc_co_u32_e32 v10, vcc, v7, v10, vcc
	global_load_dwordx2 v[9:10], v[9:10], off
	v_add_u32_e32 v11, s3, v5
	v_cmp_le_u32_e32 vcc, s10, v11
	v_add_u32_e32 v1, s7, v1
	s_or_b64 s[26:27], vcc, s[26:27]
	s_waitcnt vmcnt(0)
	ds_write_b64 v8, v[9:10]
	v_add_u32_e32 v8, 32, v8
	s_andn2_b64 exec, exec, s[26:27]
	s_cbranch_execnz .LBB0_7
.LBB0_8:
	s_or_b64 exec, exec, s[24:25]
	s_mov_b64 s[24:25], 0
.LBB0_9:
	s_andn2_b64 vcc, exec, s[24:25]
	s_cbranch_vccnz .LBB0_11
; %bb.10:
	v_mad_u64_u32 v[1:2], s[24:25], s12, v4, 0
	v_mul_lo_u32 v5, s18, v3
	v_mov_b32_e32 v6, 0
	v_mad_u64_u32 v[7:8], s[12:13], s13, v4, v[2:3]
	s_lshl_b64 s[12:13], s[22:23], 3
	s_add_u32 s3, s20, s12
	v_mov_b32_e32 v2, v7
	v_lshlrev_b64 v[1:2], 3, v[1:2]
	s_addc_u32 s7, s21, s13
	v_mov_b32_e32 v7, s7
	v_add_co_u32_e32 v21, vcc, s3, v1
	v_addc_co_u32_e32 v22, vcc, v7, v2, vcc
	v_lshlrev_b64 v[1:2], 3, v[5:6]
	s_lshl_b32 s3, s18, 2
	v_add_u32_e32 v5, s3, v5
	v_add_co_u32_e32 v1, vcc, v21, v1
	v_lshlrev_b64 v[7:8], 3, v[5:6]
	v_addc_co_u32_e32 v2, vcc, v22, v2, vcc
	v_add_u32_e32 v5, s3, v5
	v_add_co_u32_e32 v7, vcc, v21, v7
	v_lshlrev_b64 v[9:10], 3, v[5:6]
	v_addc_co_u32_e32 v8, vcc, v22, v8, vcc
	v_add_u32_e32 v5, s3, v5
	v_add_co_u32_e32 v9, vcc, v21, v9
	v_lshlrev_b64 v[11:12], 3, v[5:6]
	v_addc_co_u32_e32 v10, vcc, v22, v10, vcc
	v_add_co_u32_e32 v11, vcc, v21, v11
	v_add_u32_e32 v5, s3, v5
	v_addc_co_u32_e32 v12, vcc, v22, v12, vcc
	global_load_dwordx2 v[13:14], v[1:2], off
	global_load_dwordx2 v[15:16], v[7:8], off
	;; [unrolled: 1-line block ×4, first 2 shown]
	v_lshlrev_b64 v[1:2], 3, v[5:6]
	v_add_u32_e32 v5, s3, v5
	v_add_co_u32_e32 v1, vcc, v21, v1
	v_lshlrev_b64 v[7:8], 3, v[5:6]
	v_addc_co_u32_e32 v2, vcc, v22, v2, vcc
	v_add_u32_e32 v5, s3, v5
	v_add_co_u32_e32 v7, vcc, v21, v7
	v_lshlrev_b64 v[5:6], 3, v[5:6]
	v_addc_co_u32_e32 v8, vcc, v22, v8, vcc
	v_add_co_u32_e32 v5, vcc, v21, v5
	v_addc_co_u32_e32 v6, vcc, v22, v6, vcc
	global_load_dwordx2 v[9:10], v[1:2], off
	global_load_dwordx2 v[11:12], v[7:8], off
	;; [unrolled: 1-line block ×3, first 2 shown]
	v_mul_u32_u24_e32 v1, 0xe0, v4
	v_lshlrev_b32_e32 v2, 3, v3
	v_add3_u32 v1, 0, v1, v2
	s_waitcnt vmcnt(5)
	ds_write2_b64 v1, v[13:14], v[15:16] offset1:4
	s_waitcnt vmcnt(3)
	ds_write2_b64 v1, v[17:18], v[19:20] offset0:8 offset1:12
	s_waitcnt vmcnt(1)
	ds_write2_b64 v1, v[9:10], v[11:12] offset0:16 offset1:20
	s_waitcnt vmcnt(0)
	ds_write_b64 v1, v[21:22] offset:192
.LBB0_11:
	s_movk_i32 s3, 0x925
	v_mul_u32_u24_sdwa v1, v0, s3 dst_sel:DWORD dst_unused:UNUSED_PAD src0_sel:WORD_0 src1_sel:DWORD
	s_mov_b32 s3, 0x924924a
	v_mul_hi_u32 v4, v0, s3
	v_mov_b32_e32 v2, 28
	v_mul_lo_u16_sdwa v1, v1, v2 dst_sel:DWORD dst_unused:UNUSED_PAD src0_sel:WORD_1 src1_sel:DWORD
	v_sub_u16_e32 v1, v0, v1
	v_mul_u32_u24_e32 v2, 0xe0, v4
	v_lshlrev_b32_e32 v3, 3, v1
	v_add3_u32 v2, 0, v2, v3
	v_add_u32_e32 v3, 0xc00, v2
	v_add_u32_e32 v5, 0x1800, v2
	s_waitcnt lgkmcnt(0)
	s_barrier
	ds_read2_b64 v[6:9], v3 offset0:8 offset1:204
	ds_read2_b64 v[10:13], v5 offset0:16 offset1:212
	s_mov_b32 s3, 0x3f5ff5aa
	s_mov_b32 s12, 0xbf3bfb3b
	s_movk_i32 s7, 0x540
	v_mad_u32_u24 v30, v4, s7, v2
	s_waitcnt lgkmcnt(0)
	v_add_f32_e32 v16, v6, v12
	v_add_f32_e32 v17, v7, v13
	v_sub_f32_e32 v18, v6, v12
	v_sub_f32_e32 v19, v7, v13
	ds_read_b64 v[6:7], v2 offset:9408
	ds_read2_b64 v[12:15], v2 offset1:196
	v_add_f32_e32 v20, v8, v10
	v_sub_f32_e32 v8, v10, v8
	v_add_f32_e32 v21, v9, v11
	v_sub_f32_e32 v9, v11, v9
	s_waitcnt lgkmcnt(0)
	v_add_f32_e32 v10, v14, v6
	v_add_f32_e32 v11, v15, v7
	v_sub_f32_e32 v14, v14, v6
	v_add_f32_e32 v6, v16, v10
	v_add_f32_e32 v22, v20, v6
	;; [unrolled: 1-line block ×4, first 2 shown]
	v_sub_f32_e32 v15, v15, v7
	v_add_f32_e32 v6, v22, v12
	v_add_f32_e32 v7, v23, v13
	v_sub_f32_e32 v12, v16, v10
	v_sub_f32_e32 v10, v10, v20
	;; [unrolled: 1-line block ×3, first 2 shown]
	v_add_f32_e32 v20, v8, v18
	v_sub_f32_e32 v16, v17, v11
	v_sub_f32_e32 v11, v11, v21
	;; [unrolled: 1-line block ×6, first 2 shown]
	v_add_f32_e32 v14, v20, v14
	v_add_f32_e32 v8, v9, v19
	v_sub_f32_e32 v20, v9, v19
	v_mov_b32_e32 v26, v6
	v_sub_f32_e32 v25, v15, v9
	v_sub_f32_e32 v19, v19, v15
	v_add_f32_e32 v15, v8, v15
	v_fmac_f32_e32 v26, 0xbf955555, v22
	v_mov_b32_e32 v22, v7
	v_mul_f32_e32 v8, 0x3f4a47b2, v10
	v_mul_f32_e32 v9, 0x3f4a47b2, v11
	;; [unrolled: 1-line block ×4, first 2 shown]
	v_fmac_f32_e32 v22, 0xbf955555, v23
	v_fma_f32 v10, v12, s12, -v8
	v_fmac_f32_e32 v8, 0x3d64c772, v13
	v_fma_f32 v11, v16, s12, -v9
	;; [unrolled: 2-line block ×4, first 2 shown]
	v_fmac_f32_e32 v20, 0x3eae86e6, v25
	v_add_f32_e32 v28, v8, v26
	v_add_f32_e32 v29, v9, v22
	v_fmac_f32_e32 v21, 0x3ee1c552, v14
	v_fmac_f32_e32 v20, 0x3ee1c552, v15
	v_add_f32_e32 v8, v28, v20
	v_sub_f32_e32 v9, v29, v21
	s_barrier
	ds_write2_b64 v30, v[6:7], v[8:9] offset1:28
	v_mul_f32_e32 v6, 0x3d64c772, v13
	s_mov_b32 s13, 0x3f3bfb3b
	v_fma_f32 v6, v12, s13, -v6
	v_mul_f32_e32 v12, 0x3f5ff5aa, v18
	s_mov_b32 s15, 0xbeae86e6
	v_mul_f32_e32 v7, 0x3d64c772, v17
	v_fma_f32 v13, v24, s15, -v12
	v_mul_f32_e32 v12, 0x3f5ff5aa, v19
	v_fma_f32 v7, v16, s13, -v7
	v_fma_f32 v12, v25, s15, -v12
	v_add_f32_e32 v8, v6, v26
	v_add_f32_e32 v9, v7, v22
	v_fmac_f32_e32 v23, 0x3ee1c552, v14
	v_fmac_f32_e32 v27, 0x3ee1c552, v15
	v_add_f32_e32 v16, v10, v26
	v_add_f32_e32 v17, v11, v22
	v_fmac_f32_e32 v13, 0x3ee1c552, v14
	v_fmac_f32_e32 v12, 0x3ee1c552, v15
	v_sub_f32_e32 v6, v8, v27
	v_add_f32_e32 v7, v23, v9
	v_add_f32_e32 v10, v12, v16
	v_sub_f32_e32 v11, v17, v13
	v_add_f32_e32 v8, v27, v8
	v_sub_f32_e32 v9, v9, v23
	v_sub_f32_e32 v12, v16, v12
	v_add_f32_e32 v13, v13, v17
	v_sub_f32_e32 v14, v28, v20
	v_add_f32_e32 v15, v21, v29
	ds_write2_b64 v30, v[10:11], v[6:7] offset0:56 offset1:84
	ds_write2_b64 v30, v[8:9], v[12:13] offset0:112 offset1:140
	ds_write_b64 v30, v[14:15] offset:1344
	v_add_u32_e32 v6, s28, v1
	v_cmp_gt_u32_e32 vcc, s10, v6
	s_mov_b32 s7, 0
	s_or_b64 s[10:11], s[16:17], vcc
	s_waitcnt lgkmcnt(0)
	s_barrier
	s_and_saveexec_b64 s[16:17], s[10:11]
	s_cbranch_execz .LBB0_13
; %bb.12:
	s_mov_b32 s10, 0x24924925
	v_mul_hi_u32 v6, v4, s10
	s_load_dwordx2 s[16:17], s[4:5], 0x0
	s_load_dwordx2 s[10:11], s[4:5], 0x60
	s_mul_i32 s6, s6, s14
	s_mul_i32 s5, s1, s28
	v_mul_u32_u24_e32 v6, 7, v6
	v_sub_u32_e32 v26, v4, v6
	v_mul_u32_u24_e32 v4, 6, v26
	v_lshlrev_b32_e32 v4, 3, v4
	s_waitcnt lgkmcnt(0)
	global_load_dwordx4 v[6:9], v4, s[16:17] offset:16
	global_load_dwordx4 v[10:13], v4, s[16:17]
	global_load_dwordx4 v[14:17], v4, s[16:17] offset:32
	ds_read2_b64 v[18:21], v5 offset0:16 offset1:212
	ds_read2_b64 v[22:25], v3 offset0:8 offset1:204
	s_mul_hi_u32 s14, s0, s28
	s_mul_i32 s4, s0, s28
	s_mul_i32 s9, s9, s19
	s_mul_hi_u32 s16, s8, s19
	s_add_i32 s5, s14, s5
	s_add_i32 s9, s16, s9
	s_mul_i32 s8, s8, s19
	s_waitcnt vmcnt(2) lgkmcnt(1)
	v_mul_f32_e32 v3, v9, v19
	s_waitcnt lgkmcnt(0)
	v_mul_f32_e32 v4, v7, v25
	v_mul_f32_e32 v27, v7, v24
	;; [unrolled: 1-line block ×3, first 2 shown]
	v_fma_f32 v18, v8, v18, -v3
	s_waitcnt vmcnt(1)
	v_mul_f32_e32 v3, v13, v23
	v_fma_f32 v24, v6, v24, -v4
	v_fmac_f32_e32 v27, v6, v25
	v_fmac_f32_e32 v9, v8, v19
	v_mul_f32_e32 v13, v13, v22
	v_fma_f32 v19, v12, v22, -v3
	ds_read2_b64 v[3:6], v2 offset1:196
	s_waitcnt vmcnt(0)
	v_mul_f32_e32 v7, v15, v21
	v_fmac_f32_e32 v13, v12, v23
	v_mul_f32_e32 v12, v15, v20
	v_fma_f32 v15, v14, v20, -v7
	ds_read_b64 v[7:8], v2 offset:9408
	s_waitcnt lgkmcnt(1)
	v_mul_f32_e32 v2, v11, v6
	v_mul_f32_e32 v11, v11, v5
	v_fma_f32 v2, v10, v5, -v2
	v_fmac_f32_e32 v12, v14, v21
	s_waitcnt lgkmcnt(0)
	v_mul_f32_e32 v5, v17, v7
	v_mul_f32_e32 v14, v17, v8
	v_fmac_f32_e32 v11, v10, v6
	v_fmac_f32_e32 v5, v16, v8
	v_fma_f32 v6, v16, v7, -v14
	v_sub_f32_e32 v7, v18, v24
	v_sub_f32_e32 v8, v19, v15
	v_add_f32_e32 v14, v27, v9
	v_add_f32_e32 v16, v13, v12
	v_add_f32_e32 v17, v11, v5
	v_sub_f32_e32 v10, v2, v6
	v_add_f32_e32 v15, v19, v15
	v_add_f32_e32 v2, v2, v6
	v_sub_f32_e32 v9, v9, v27
	v_sub_f32_e32 v12, v13, v12
	;; [unrolled: 1-line block ×3, first 2 shown]
	v_add_f32_e32 v5, v7, v8
	v_sub_f32_e32 v19, v17, v14
	v_add_f32_e32 v20, v16, v17
	v_add_f32_e32 v18, v24, v18
	v_sub_f32_e32 v6, v7, v8
	v_sub_f32_e32 v7, v10, v7
	v_add_f32_e32 v23, v15, v2
	v_add_f32_e32 v24, v9, v12
	v_sub_f32_e32 v25, v8, v10
	v_add_f32_e32 v10, v5, v10
	v_mul_f32_e32 v19, 0x3f4a47b2, v19
	v_add_f32_e32 v5, v14, v20
	v_sub_f32_e32 v13, v14, v16
	v_sub_f32_e32 v21, v18, v15
	;; [unrolled: 1-line block ×4, first 2 shown]
	v_mul_f32_e32 v16, 0xbf08b237, v6
	v_add_f32_e32 v6, v18, v23
	v_add_f32_e32 v18, v24, v11
	;; [unrolled: 1-line block ×3, first 2 shown]
	v_mov_b32_e32 v24, v19
	v_mul_f32_e32 v17, 0x3d64c772, v13
	v_mul_f32_e32 v20, 0x3f4a47b2, v22
	;; [unrolled: 1-line block ×3, first 2 shown]
	v_mov_b32_e32 v23, v16
	v_fmac_f32_e32 v24, 0x3d64c772, v13
	v_mov_b32_e32 v13, v4
	v_fma_f32 v22, v7, s15, -v22
	v_fmac_f32_e32 v23, 0x3eae86e6, v7
	v_fmac_f32_e32 v13, 0xbf955555, v5
	v_sub_f32_e32 v5, v9, v12
	v_sub_f32_e32 v7, v11, v9
	v_fma_f32 v9, v8, s12, -v19
	v_sub_f32_e32 v2, v15, v2
	v_add_f32_e32 v15, v9, v13
	v_sub_f32_e32 v9, v12, v11
	v_mul_f32_e32 v28, 0xbf08b237, v5
	v_mul_f32_e32 v11, 0x3f5ff5aa, v9
	;; [unrolled: 1-line block ×3, first 2 shown]
	v_mov_b32_e32 v29, v28
	v_fma_f32 v19, v7, s15, -v11
	v_fma_f32 v11, v8, s13, -v17
	v_add_f32_e32 v3, v6, v3
	v_mov_b32_e32 v27, v20
	v_add_f32_e32 v24, v24, v13
	v_fmac_f32_e32 v29, 0x3eae86e6, v7
	v_fma_f32 v7, v2, s12, -v20
	v_add_f32_e32 v11, v11, v13
	v_fma_f32 v2, v2, s13, -v14
	v_mad_u64_u32 v[13:14], s[12:13], s0, v1, 0
	v_fmac_f32_e32 v27, 0x3d64c772, v21
	v_mov_b32_e32 v21, v3
	v_fmac_f32_e32 v21, 0xbf955555, v6
	v_fma_f32 v12, v25, s3, -v16
	v_fma_f32 v16, v9, s3, -v28
	v_fmac_f32_e32 v12, 0x3ee1c552, v10
	v_fmac_f32_e32 v16, 0x3ee1c552, v18
	v_add_f32_e32 v2, v2, v21
	v_fmac_f32_e32 v23, 0x3ee1c552, v10
	v_fmac_f32_e32 v22, 0x3ee1c552, v10
	v_sub_f32_e32 v10, v11, v12
	v_add_f32_e32 v9, v16, v2
	v_add_f32_e32 v12, v12, v11
	v_sub_f32_e32 v11, v2, v16
	v_mov_b32_e32 v2, v14
	v_mad_u64_u32 v[1:2], s[0:1], s1, v1, v[2:3]
	s_mov_b32 s0, 0x14e5e0b
	v_mul_hi_u32 v0, v0, s0
	s_lshl_b64 s[0:1], s[4:5], 3
	s_add_u32 s3, s10, s0
	s_addc_u32 s4, s11, s1
	s_lshl_b64 s[0:1], s[6:7], 3
	v_mad_u32_u24 v0, v0, 49, v26
	s_add_u32 s3, s3, s0
	v_mov_b32_e32 v14, v1
	v_mul_lo_u32 v0, v0, s2
	s_addc_u32 s4, s4, s1
	s_lshl_b64 s[0:1], s[8:9], 3
	s_add_u32 s0, s3, s0
	v_lshlrev_b64 v[13:14], 3, v[13:14]
	v_add_f32_e32 v17, v7, v21
	v_fmac_f32_e32 v19, 0x3ee1c552, v18
	s_addc_u32 s1, s4, s1
	v_add_f32_e32 v8, v22, v15
	v_sub_f32_e32 v7, v17, v19
	v_sub_f32_e32 v16, v15, v22
	v_add_f32_e32 v15, v19, v17
	v_mov_b32_e32 v1, 0
	v_mov_b32_e32 v2, s1
	v_add_co_u32_e32 v19, vcc, s0, v13
	v_addc_co_u32_e32 v20, vcc, v2, v14, vcc
	v_lshlrev_b64 v[13:14], 3, v[0:1]
	s_mul_i32 s0, s2, 7
	v_add_co_u32_e32 v13, vcc, v19, v13
	v_addc_co_u32_e32 v14, vcc, v20, v14, vcc
	v_add_u32_e32 v0, s0, v0
	global_store_dwordx2 v[13:14], v[3:4], off
	v_lshlrev_b64 v[2:3], 3, v[0:1]
	v_add_f32_e32 v27, v27, v21
	v_fmac_f32_e32 v29, 0x3ee1c552, v18
	v_add_co_u32_e32 v2, vcc, v19, v2
	v_sub_f32_e32 v18, v24, v23
	v_add_f32_e32 v17, v29, v27
	v_addc_co_u32_e32 v3, vcc, v20, v3, vcc
	v_add_u32_e32 v0, s0, v0
	global_store_dwordx2 v[2:3], v[17:18], off
	v_lshlrev_b64 v[2:3], 3, v[0:1]
	v_add_u32_e32 v0, s0, v0
	v_add_co_u32_e32 v2, vcc, v19, v2
	v_addc_co_u32_e32 v3, vcc, v20, v3, vcc
	global_store_dwordx2 v[2:3], v[15:16], off
	v_lshlrev_b64 v[2:3], 3, v[0:1]
	v_add_u32_e32 v0, s0, v0
	v_add_co_u32_e32 v2, vcc, v19, v2
	v_addc_co_u32_e32 v3, vcc, v20, v3, vcc
	;; [unrolled: 5-line block ×3, first 2 shown]
	global_store_dwordx2 v[2:3], v[9:10], off
	v_lshlrev_b64 v[2:3], 3, v[0:1]
	v_add_u32_e32 v0, s0, v0
	v_add_co_u32_e32 v2, vcc, v19, v2
	v_lshlrev_b64 v[0:1], 3, v[0:1]
	v_addc_co_u32_e32 v3, vcc, v20, v3, vcc
	v_add_co_u32_e32 v0, vcc, v19, v0
	v_add_f32_e32 v6, v23, v24
	v_sub_f32_e32 v5, v27, v29
	v_addc_co_u32_e32 v1, vcc, v20, v1, vcc
	global_store_dwordx2 v[2:3], v[7:8], off
	global_store_dwordx2 v[0:1], v[5:6], off
.LBB0_13:
	s_endpgm
	.section	.rodata,"a",@progbits
	.p2align	6, 0x0
	.amdhsa_kernel fft_rtc_fwd_len49_factors_7_7_wgs_196_tpt_7_sp_op_CI_CI_sbrc_xy_z_unaligned_dirReg
		.amdhsa_group_segment_fixed_size 0
		.amdhsa_private_segment_fixed_size 0
		.amdhsa_kernarg_size 104
		.amdhsa_user_sgpr_count 6
		.amdhsa_user_sgpr_private_segment_buffer 1
		.amdhsa_user_sgpr_dispatch_ptr 0
		.amdhsa_user_sgpr_queue_ptr 0
		.amdhsa_user_sgpr_kernarg_segment_ptr 1
		.amdhsa_user_sgpr_dispatch_id 0
		.amdhsa_user_sgpr_flat_scratch_init 0
		.amdhsa_user_sgpr_private_segment_size 0
		.amdhsa_uses_dynamic_stack 0
		.amdhsa_system_sgpr_private_segment_wavefront_offset 0
		.amdhsa_system_sgpr_workgroup_id_x 1
		.amdhsa_system_sgpr_workgroup_id_y 0
		.amdhsa_system_sgpr_workgroup_id_z 0
		.amdhsa_system_sgpr_workgroup_info 0
		.amdhsa_system_vgpr_workitem_id 0
		.amdhsa_next_free_vgpr 31
		.amdhsa_next_free_sgpr 32
		.amdhsa_reserve_vcc 1
		.amdhsa_reserve_flat_scratch 0
		.amdhsa_float_round_mode_32 0
		.amdhsa_float_round_mode_16_64 0
		.amdhsa_float_denorm_mode_32 3
		.amdhsa_float_denorm_mode_16_64 3
		.amdhsa_dx10_clamp 1
		.amdhsa_ieee_mode 1
		.amdhsa_fp16_overflow 0
		.amdhsa_exception_fp_ieee_invalid_op 0
		.amdhsa_exception_fp_denorm_src 0
		.amdhsa_exception_fp_ieee_div_zero 0
		.amdhsa_exception_fp_ieee_overflow 0
		.amdhsa_exception_fp_ieee_underflow 0
		.amdhsa_exception_fp_ieee_inexact 0
		.amdhsa_exception_int_div_zero 0
	.end_amdhsa_kernel
	.text
.Lfunc_end0:
	.size	fft_rtc_fwd_len49_factors_7_7_wgs_196_tpt_7_sp_op_CI_CI_sbrc_xy_z_unaligned_dirReg, .Lfunc_end0-fft_rtc_fwd_len49_factors_7_7_wgs_196_tpt_7_sp_op_CI_CI_sbrc_xy_z_unaligned_dirReg
                                        ; -- End function
	.section	.AMDGPU.csdata,"",@progbits
; Kernel info:
; codeLenInByte = 2788
; NumSgprs: 36
; NumVgprs: 31
; ScratchSize: 0
; MemoryBound: 0
; FloatMode: 240
; IeeeMode: 1
; LDSByteSize: 0 bytes/workgroup (compile time only)
; SGPRBlocks: 4
; VGPRBlocks: 7
; NumSGPRsForWavesPerEU: 36
; NumVGPRsForWavesPerEU: 31
; Occupancy: 8
; WaveLimiterHint : 1
; COMPUTE_PGM_RSRC2:SCRATCH_EN: 0
; COMPUTE_PGM_RSRC2:USER_SGPR: 6
; COMPUTE_PGM_RSRC2:TRAP_HANDLER: 0
; COMPUTE_PGM_RSRC2:TGID_X_EN: 1
; COMPUTE_PGM_RSRC2:TGID_Y_EN: 0
; COMPUTE_PGM_RSRC2:TGID_Z_EN: 0
; COMPUTE_PGM_RSRC2:TIDIG_COMP_CNT: 0
	.type	__hip_cuid_6d56e014bc71144d,@object ; @__hip_cuid_6d56e014bc71144d
	.section	.bss,"aw",@nobits
	.globl	__hip_cuid_6d56e014bc71144d
__hip_cuid_6d56e014bc71144d:
	.byte	0                               ; 0x0
	.size	__hip_cuid_6d56e014bc71144d, 1

	.ident	"AMD clang version 19.0.0git (https://github.com/RadeonOpenCompute/llvm-project roc-6.4.0 25133 c7fe45cf4b819c5991fe208aaa96edf142730f1d)"
	.section	".note.GNU-stack","",@progbits
	.addrsig
	.addrsig_sym __hip_cuid_6d56e014bc71144d
	.amdgpu_metadata
---
amdhsa.kernels:
  - .args:
      - .actual_access:  read_only
        .address_space:  global
        .offset:         0
        .size:           8
        .value_kind:     global_buffer
      - .offset:         8
        .size:           8
        .value_kind:     by_value
      - .actual_access:  read_only
        .address_space:  global
        .offset:         16
        .size:           8
        .value_kind:     global_buffer
      - .actual_access:  read_only
        .address_space:  global
        .offset:         24
        .size:           8
        .value_kind:     global_buffer
      - .actual_access:  read_only
        .address_space:  global
        .offset:         32
        .size:           8
        .value_kind:     global_buffer
      - .offset:         40
        .size:           8
        .value_kind:     by_value
      - .actual_access:  read_only
        .address_space:  global
        .offset:         48
        .size:           8
        .value_kind:     global_buffer
      - .actual_access:  read_only
        .address_space:  global
        .offset:         56
        .size:           8
        .value_kind:     global_buffer
      - .offset:         64
        .size:           4
        .value_kind:     by_value
      - .actual_access:  read_only
        .address_space:  global
        .offset:         72
        .size:           8
        .value_kind:     global_buffer
      - .actual_access:  read_only
        .address_space:  global
        .offset:         80
        .size:           8
        .value_kind:     global_buffer
      - .actual_access:  read_only
        .address_space:  global
        .offset:         88
        .size:           8
        .value_kind:     global_buffer
      - .actual_access:  write_only
        .address_space:  global
        .offset:         96
        .size:           8
        .value_kind:     global_buffer
    .group_segment_fixed_size: 0
    .kernarg_segment_align: 8
    .kernarg_segment_size: 104
    .language:       OpenCL C
    .language_version:
      - 2
      - 0
    .max_flat_workgroup_size: 196
    .name:           fft_rtc_fwd_len49_factors_7_7_wgs_196_tpt_7_sp_op_CI_CI_sbrc_xy_z_unaligned_dirReg
    .private_segment_fixed_size: 0
    .sgpr_count:     36
    .sgpr_spill_count: 0
    .symbol:         fft_rtc_fwd_len49_factors_7_7_wgs_196_tpt_7_sp_op_CI_CI_sbrc_xy_z_unaligned_dirReg.kd
    .uniform_work_group_size: 1
    .uses_dynamic_stack: false
    .vgpr_count:     31
    .vgpr_spill_count: 0
    .wavefront_size: 64
amdhsa.target:   amdgcn-amd-amdhsa--gfx906
amdhsa.version:
  - 1
  - 2
...

	.end_amdgpu_metadata
